;; amdgpu-corpus repo=ROCm/rocFFT kind=compiled arch=gfx1201 opt=O3
	.text
	.amdgcn_target "amdgcn-amd-amdhsa--gfx1201"
	.amdhsa_code_object_version 6
	.protected	fft_rtc_back_len1764_factors_2_2_3_3_7_7_wgs_126_tpt_126_halfLds_half_ip_CI_unitstride_sbrr_C2R_dirReg ; -- Begin function fft_rtc_back_len1764_factors_2_2_3_3_7_7_wgs_126_tpt_126_halfLds_half_ip_CI_unitstride_sbrr_C2R_dirReg
	.globl	fft_rtc_back_len1764_factors_2_2_3_3_7_7_wgs_126_tpt_126_halfLds_half_ip_CI_unitstride_sbrr_C2R_dirReg
	.p2align	8
	.type	fft_rtc_back_len1764_factors_2_2_3_3_7_7_wgs_126_tpt_126_halfLds_half_ip_CI_unitstride_sbrr_C2R_dirReg,@function
fft_rtc_back_len1764_factors_2_2_3_3_7_7_wgs_126_tpt_126_halfLds_half_ip_CI_unitstride_sbrr_C2R_dirReg: ; @fft_rtc_back_len1764_factors_2_2_3_3_7_7_wgs_126_tpt_126_halfLds_half_ip_CI_unitstride_sbrr_C2R_dirReg
; %bb.0:
	s_clause 0x2
	s_load_b128 s[4:7], s[0:1], 0x0
	s_load_b64 s[8:9], s[0:1], 0x50
	s_load_b64 s[10:11], s[0:1], 0x18
	v_mul_u32_u24_e32 v1, 0x209, v0
	v_mov_b32_e32 v3, 0
	s_delay_alu instid0(VALU_DEP_2) | instskip(NEXT) | instid1(VALU_DEP_1)
	v_lshrrev_b32_e32 v1, 16, v1
	v_add_nc_u32_e32 v5, ttmp9, v1
	v_mov_b32_e32 v1, 0
	v_mov_b32_e32 v2, 0
	;; [unrolled: 1-line block ×3, first 2 shown]
	s_wait_kmcnt 0x0
	v_cmp_lt_u64_e64 s2, s[6:7], 2
	s_delay_alu instid0(VALU_DEP_1)
	s_and_b32 vcc_lo, exec_lo, s2
	s_cbranch_vccnz .LBB0_8
; %bb.1:
	s_load_b64 s[2:3], s[0:1], 0x10
	v_mov_b32_e32 v1, 0
	v_mov_b32_e32 v2, 0
	s_add_nc_u64 s[12:13], s[10:11], 8
	s_mov_b64 s[14:15], 1
	s_wait_kmcnt 0x0
	s_add_nc_u64 s[16:17], s[2:3], 8
	s_mov_b32 s3, 0
.LBB0_2:                                ; =>This Inner Loop Header: Depth=1
	s_load_b64 s[18:19], s[16:17], 0x0
                                        ; implicit-def: $vgpr7_vgpr8
	s_mov_b32 s2, exec_lo
	s_wait_kmcnt 0x0
	v_or_b32_e32 v4, s19, v6
	s_delay_alu instid0(VALU_DEP_1)
	v_cmpx_ne_u64_e32 0, v[3:4]
	s_wait_alu 0xfffe
	s_xor_b32 s20, exec_lo, s2
	s_cbranch_execz .LBB0_4
; %bb.3:                                ;   in Loop: Header=BB0_2 Depth=1
	s_cvt_f32_u32 s2, s18
	s_cvt_f32_u32 s21, s19
	s_sub_nc_u64 s[24:25], 0, s[18:19]
	s_wait_alu 0xfffe
	s_delay_alu instid0(SALU_CYCLE_1) | instskip(SKIP_1) | instid1(SALU_CYCLE_2)
	s_fmamk_f32 s2, s21, 0x4f800000, s2
	s_wait_alu 0xfffe
	v_s_rcp_f32 s2, s2
	s_delay_alu instid0(TRANS32_DEP_1) | instskip(SKIP_1) | instid1(SALU_CYCLE_2)
	s_mul_f32 s2, s2, 0x5f7ffffc
	s_wait_alu 0xfffe
	s_mul_f32 s21, s2, 0x2f800000
	s_wait_alu 0xfffe
	s_delay_alu instid0(SALU_CYCLE_2) | instskip(SKIP_1) | instid1(SALU_CYCLE_2)
	s_trunc_f32 s21, s21
	s_wait_alu 0xfffe
	s_fmamk_f32 s2, s21, 0xcf800000, s2
	s_cvt_u32_f32 s23, s21
	s_wait_alu 0xfffe
	s_delay_alu instid0(SALU_CYCLE_1) | instskip(SKIP_1) | instid1(SALU_CYCLE_2)
	s_cvt_u32_f32 s22, s2
	s_wait_alu 0xfffe
	s_mul_u64 s[26:27], s[24:25], s[22:23]
	s_wait_alu 0xfffe
	s_mul_hi_u32 s29, s22, s27
	s_mul_i32 s28, s22, s27
	s_mul_hi_u32 s2, s22, s26
	s_mul_i32 s30, s23, s26
	s_wait_alu 0xfffe
	s_add_nc_u64 s[28:29], s[2:3], s[28:29]
	s_mul_hi_u32 s21, s23, s26
	s_mul_hi_u32 s31, s23, s27
	s_add_co_u32 s2, s28, s30
	s_wait_alu 0xfffe
	s_add_co_ci_u32 s2, s29, s21
	s_mul_i32 s26, s23, s27
	s_add_co_ci_u32 s27, s31, 0
	s_wait_alu 0xfffe
	s_add_nc_u64 s[26:27], s[2:3], s[26:27]
	s_wait_alu 0xfffe
	v_add_co_u32 v4, s2, s22, s26
	s_delay_alu instid0(VALU_DEP_1) | instskip(SKIP_1) | instid1(VALU_DEP_1)
	s_cmp_lg_u32 s2, 0
	s_add_co_ci_u32 s23, s23, s27
	v_readfirstlane_b32 s22, v4
	s_wait_alu 0xfffe
	s_delay_alu instid0(VALU_DEP_1)
	s_mul_u64 s[24:25], s[24:25], s[22:23]
	s_wait_alu 0xfffe
	s_mul_hi_u32 s27, s22, s25
	s_mul_i32 s26, s22, s25
	s_mul_hi_u32 s2, s22, s24
	s_mul_i32 s28, s23, s24
	s_wait_alu 0xfffe
	s_add_nc_u64 s[26:27], s[2:3], s[26:27]
	s_mul_hi_u32 s21, s23, s24
	s_mul_hi_u32 s22, s23, s25
	s_wait_alu 0xfffe
	s_add_co_u32 s2, s26, s28
	s_add_co_ci_u32 s2, s27, s21
	s_mul_i32 s24, s23, s25
	s_add_co_ci_u32 s25, s22, 0
	s_wait_alu 0xfffe
	s_add_nc_u64 s[24:25], s[2:3], s[24:25]
	s_wait_alu 0xfffe
	v_add_co_u32 v4, s2, v4, s24
	s_delay_alu instid0(VALU_DEP_1) | instskip(SKIP_1) | instid1(VALU_DEP_1)
	s_cmp_lg_u32 s2, 0
	s_add_co_ci_u32 s2, s23, s25
	v_mul_hi_u32 v13, v5, v4
	s_wait_alu 0xfffe
	v_mad_co_u64_u32 v[7:8], null, v5, s2, 0
	v_mad_co_u64_u32 v[9:10], null, v6, v4, 0
	;; [unrolled: 1-line block ×3, first 2 shown]
	s_delay_alu instid0(VALU_DEP_3) | instskip(SKIP_1) | instid1(VALU_DEP_4)
	v_add_co_u32 v4, vcc_lo, v13, v7
	s_wait_alu 0xfffd
	v_add_co_ci_u32_e32 v7, vcc_lo, 0, v8, vcc_lo
	s_delay_alu instid0(VALU_DEP_2) | instskip(SKIP_1) | instid1(VALU_DEP_2)
	v_add_co_u32 v4, vcc_lo, v4, v9
	s_wait_alu 0xfffd
	v_add_co_ci_u32_e32 v4, vcc_lo, v7, v10, vcc_lo
	s_wait_alu 0xfffd
	v_add_co_ci_u32_e32 v7, vcc_lo, 0, v12, vcc_lo
	s_delay_alu instid0(VALU_DEP_2) | instskip(SKIP_1) | instid1(VALU_DEP_2)
	v_add_co_u32 v4, vcc_lo, v4, v11
	s_wait_alu 0xfffd
	v_add_co_ci_u32_e32 v9, vcc_lo, 0, v7, vcc_lo
	s_delay_alu instid0(VALU_DEP_2) | instskip(SKIP_1) | instid1(VALU_DEP_3)
	v_mul_lo_u32 v10, s19, v4
	v_mad_co_u64_u32 v[7:8], null, s18, v4, 0
	v_mul_lo_u32 v11, s18, v9
	s_delay_alu instid0(VALU_DEP_2) | instskip(NEXT) | instid1(VALU_DEP_2)
	v_sub_co_u32 v7, vcc_lo, v5, v7
	v_add3_u32 v8, v8, v11, v10
	s_delay_alu instid0(VALU_DEP_1) | instskip(SKIP_1) | instid1(VALU_DEP_1)
	v_sub_nc_u32_e32 v10, v6, v8
	s_wait_alu 0xfffd
	v_subrev_co_ci_u32_e64 v10, s2, s19, v10, vcc_lo
	v_add_co_u32 v11, s2, v4, 2
	s_wait_alu 0xf1ff
	v_add_co_ci_u32_e64 v12, s2, 0, v9, s2
	v_sub_co_u32 v13, s2, v7, s18
	v_sub_co_ci_u32_e32 v8, vcc_lo, v6, v8, vcc_lo
	s_wait_alu 0xf1ff
	v_subrev_co_ci_u32_e64 v10, s2, 0, v10, s2
	s_delay_alu instid0(VALU_DEP_3) | instskip(NEXT) | instid1(VALU_DEP_3)
	v_cmp_le_u32_e32 vcc_lo, s18, v13
	v_cmp_eq_u32_e64 s2, s19, v8
	s_wait_alu 0xfffd
	v_cndmask_b32_e64 v13, 0, -1, vcc_lo
	v_cmp_le_u32_e32 vcc_lo, s19, v10
	s_wait_alu 0xfffd
	v_cndmask_b32_e64 v14, 0, -1, vcc_lo
	v_cmp_le_u32_e32 vcc_lo, s18, v7
	;; [unrolled: 3-line block ×3, first 2 shown]
	s_wait_alu 0xfffd
	v_cndmask_b32_e64 v15, 0, -1, vcc_lo
	v_cmp_eq_u32_e32 vcc_lo, s19, v10
	s_wait_alu 0xf1ff
	s_delay_alu instid0(VALU_DEP_2)
	v_cndmask_b32_e64 v7, v15, v7, s2
	s_wait_alu 0xfffd
	v_cndmask_b32_e32 v10, v14, v13, vcc_lo
	v_add_co_u32 v13, vcc_lo, v4, 1
	s_wait_alu 0xfffd
	v_add_co_ci_u32_e32 v14, vcc_lo, 0, v9, vcc_lo
	s_delay_alu instid0(VALU_DEP_3) | instskip(SKIP_2) | instid1(VALU_DEP_3)
	v_cmp_ne_u32_e32 vcc_lo, 0, v10
	s_wait_alu 0xfffd
	v_cndmask_b32_e32 v10, v13, v11, vcc_lo
	v_cndmask_b32_e32 v8, v14, v12, vcc_lo
	v_cmp_ne_u32_e32 vcc_lo, 0, v7
	s_wait_alu 0xfffd
	s_delay_alu instid0(VALU_DEP_2)
	v_dual_cndmask_b32 v7, v4, v10 :: v_dual_cndmask_b32 v8, v9, v8
.LBB0_4:                                ;   in Loop: Header=BB0_2 Depth=1
	s_wait_alu 0xfffe
	s_and_not1_saveexec_b32 s2, s20
	s_cbranch_execz .LBB0_6
; %bb.5:                                ;   in Loop: Header=BB0_2 Depth=1
	v_cvt_f32_u32_e32 v4, s18
	s_sub_co_i32 s20, 0, s18
	s_delay_alu instid0(VALU_DEP_1) | instskip(NEXT) | instid1(TRANS32_DEP_1)
	v_rcp_iflag_f32_e32 v4, v4
	v_mul_f32_e32 v4, 0x4f7ffffe, v4
	s_delay_alu instid0(VALU_DEP_1) | instskip(SKIP_1) | instid1(VALU_DEP_1)
	v_cvt_u32_f32_e32 v4, v4
	s_wait_alu 0xfffe
	v_mul_lo_u32 v7, s20, v4
	s_delay_alu instid0(VALU_DEP_1) | instskip(NEXT) | instid1(VALU_DEP_1)
	v_mul_hi_u32 v7, v4, v7
	v_add_nc_u32_e32 v4, v4, v7
	s_delay_alu instid0(VALU_DEP_1) | instskip(NEXT) | instid1(VALU_DEP_1)
	v_mul_hi_u32 v4, v5, v4
	v_mul_lo_u32 v7, v4, s18
	v_add_nc_u32_e32 v8, 1, v4
	s_delay_alu instid0(VALU_DEP_2) | instskip(NEXT) | instid1(VALU_DEP_1)
	v_sub_nc_u32_e32 v7, v5, v7
	v_subrev_nc_u32_e32 v9, s18, v7
	v_cmp_le_u32_e32 vcc_lo, s18, v7
	s_wait_alu 0xfffd
	s_delay_alu instid0(VALU_DEP_2) | instskip(NEXT) | instid1(VALU_DEP_1)
	v_dual_cndmask_b32 v7, v7, v9 :: v_dual_cndmask_b32 v4, v4, v8
	v_cmp_le_u32_e32 vcc_lo, s18, v7
	s_delay_alu instid0(VALU_DEP_2) | instskip(SKIP_1) | instid1(VALU_DEP_1)
	v_add_nc_u32_e32 v8, 1, v4
	s_wait_alu 0xfffd
	v_dual_cndmask_b32 v7, v4, v8 :: v_dual_mov_b32 v8, v3
.LBB0_6:                                ;   in Loop: Header=BB0_2 Depth=1
	s_wait_alu 0xfffe
	s_or_b32 exec_lo, exec_lo, s2
	s_load_b64 s[20:21], s[12:13], 0x0
	s_delay_alu instid0(VALU_DEP_1)
	v_mul_lo_u32 v4, v8, s18
	v_mul_lo_u32 v11, v7, s19
	v_mad_co_u64_u32 v[9:10], null, v7, s18, 0
	s_add_nc_u64 s[14:15], s[14:15], 1
	s_add_nc_u64 s[12:13], s[12:13], 8
	s_wait_alu 0xfffe
	v_cmp_ge_u64_e64 s2, s[14:15], s[6:7]
	s_add_nc_u64 s[16:17], s[16:17], 8
	s_delay_alu instid0(VALU_DEP_2) | instskip(NEXT) | instid1(VALU_DEP_3)
	v_add3_u32 v4, v10, v11, v4
	v_sub_co_u32 v5, vcc_lo, v5, v9
	s_wait_alu 0xfffd
	s_delay_alu instid0(VALU_DEP_2) | instskip(SKIP_3) | instid1(VALU_DEP_2)
	v_sub_co_ci_u32_e32 v4, vcc_lo, v6, v4, vcc_lo
	s_and_b32 vcc_lo, exec_lo, s2
	s_wait_kmcnt 0x0
	v_mul_lo_u32 v6, s21, v5
	v_mul_lo_u32 v4, s20, v4
	v_mad_co_u64_u32 v[1:2], null, s20, v5, v[1:2]
	s_delay_alu instid0(VALU_DEP_1)
	v_add3_u32 v2, v6, v2, v4
	s_wait_alu 0xfffe
	s_cbranch_vccnz .LBB0_9
; %bb.7:                                ;   in Loop: Header=BB0_2 Depth=1
	v_dual_mov_b32 v5, v7 :: v_dual_mov_b32 v6, v8
	s_branch .LBB0_2
.LBB0_8:
	v_dual_mov_b32 v8, v6 :: v_dual_mov_b32 v7, v5
.LBB0_9:
	s_lshl_b64 s[2:3], s[6:7], 3
	v_mul_hi_u32 v5, 0x2082083, v0
	s_wait_alu 0xfffe
	s_add_nc_u64 s[2:3], s[10:11], s[2:3]
	s_load_b64 s[2:3], s[2:3], 0x0
	s_load_b64 s[0:1], s[0:1], 0x20
	s_wait_kmcnt 0x0
	v_mul_lo_u32 v3, s2, v8
	v_mul_lo_u32 v4, s3, v7
	v_mad_co_u64_u32 v[1:2], null, s2, v7, v[1:2]
	v_cmp_gt_u64_e32 vcc_lo, s[0:1], v[7:8]
	s_delay_alu instid0(VALU_DEP_2) | instskip(SKIP_1) | instid1(VALU_DEP_2)
	v_add3_u32 v2, v4, v2, v3
	v_mul_u32_u24_e32 v4, 0x7e, v5
	v_lshlrev_b64_e32 v[2:3], 2, v[1:2]
	s_delay_alu instid0(VALU_DEP_2)
	v_sub_nc_u32_e32 v0, v0, v4
	s_and_saveexec_b32 s1, vcc_lo
	s_cbranch_execz .LBB0_13
; %bb.10:
	v_mov_b32_e32 v1, 0
	s_delay_alu instid0(VALU_DEP_3) | instskip(SKIP_2) | instid1(VALU_DEP_3)
	v_add_co_u32 v4, s0, s8, v2
	s_wait_alu 0xf1ff
	v_add_co_ci_u32_e64 v5, s0, s9, v3, s0
	v_lshlrev_b64_e32 v[6:7], 2, v[0:1]
	s_mov_b32 s2, exec_lo
	s_delay_alu instid0(VALU_DEP_1) | instskip(SKIP_1) | instid1(VALU_DEP_2)
	v_add_co_u32 v6, s0, v4, v6
	s_wait_alu 0xf1ff
	v_add_co_ci_u32_e64 v7, s0, v5, v7, s0
	s_clause 0xd
	global_load_b32 v8, v[6:7], off
	global_load_b32 v9, v[6:7], off offset:504
	global_load_b32 v10, v[6:7], off offset:1008
	;; [unrolled: 1-line block ×13, first 2 shown]
	v_lshl_add_u32 v7, v0, 2, 0
	s_delay_alu instid0(VALU_DEP_1)
	v_add_nc_u32_e32 v22, 0x600, v7
	v_add_nc_u32_e32 v21, 0x200, v7
	;; [unrolled: 1-line block ×6, first 2 shown]
	s_wait_loadcnt 0xc
	ds_store_2addr_b32 v7, v8, v9 offset1:126
	s_wait_loadcnt 0xa
	ds_store_2addr_b32 v21, v10, v11 offset0:124 offset1:250
	s_wait_loadcnt 0x8
	ds_store_2addr_b32 v22, v12, v13 offset0:120 offset1:246
	;; [unrolled: 2-line block ×6, first 2 shown]
	v_cmpx_eq_u32_e32 0x7d, v0
	s_cbranch_execz .LBB0_12
; %bb.11:
	global_load_b32 v4, v[4:5], off offset:7056
	v_mov_b32_e32 v0, 0x7d
	s_wait_loadcnt 0x0
	ds_store_b32 v1, v4 offset:7056
.LBB0_12:
	s_wait_alu 0xfffe
	s_or_b32 exec_lo, exec_lo, s2
.LBB0_13:
	s_wait_alu 0xfffe
	s_or_b32 exec_lo, exec_lo, s1
	v_lshlrev_b32_e32 v1, 2, v0
	global_wb scope:SCOPE_SE
	s_wait_dscnt 0x0
	s_barrier_signal -1
	s_barrier_wait -1
	global_inv scope:SCOPE_SE
	v_add_nc_u32_e32 v16, 0, v1
	v_sub_nc_u32_e32 v6, 0, v1
	s_mov_b32 s1, exec_lo
                                        ; implicit-def: $vgpr4_vgpr5
	ds_load_u16 v9, v16
	ds_load_u16 v10, v6 offset:7056
	s_wait_dscnt 0x0
	v_add_f16_e32 v8, v10, v9
	v_sub_f16_e32 v7, v9, v10
	v_cmpx_ne_u32_e32 0, v0
	s_wait_alu 0xfffe
	s_xor_b32 s1, exec_lo, s1
	s_cbranch_execz .LBB0_15
; %bb.14:
	v_mov_b32_e32 v1, 0
	v_add_f16_e32 v8, v10, v9
	v_sub_f16_e32 v9, v9, v10
	s_delay_alu instid0(VALU_DEP_3) | instskip(NEXT) | instid1(VALU_DEP_1)
	v_lshlrev_b64_e32 v[4:5], 2, v[0:1]
	v_add_co_u32 v4, s0, s4, v4
	s_wait_alu 0xf1ff
	s_delay_alu instid0(VALU_DEP_2)
	v_add_co_ci_u32_e64 v5, s0, s5, v5, s0
	global_load_b32 v4, v[4:5], off offset:7048
	ds_load_u16 v5, v6 offset:7058
	ds_load_u16 v7, v16 offset:2
	s_wait_dscnt 0x0
	v_add_f16_e32 v10, v5, v7
	v_sub_f16_e32 v5, v7, v5
	s_wait_loadcnt 0x0
	v_lshrrev_b32_e32 v11, 16, v4
	s_delay_alu instid0(VALU_DEP_1) | instskip(NEXT) | instid1(VALU_DEP_3)
	v_fma_f16 v12, -v9, v11, v8
	v_fma_f16 v13, v10, v11, -v5
	v_fma_f16 v7, v10, v11, v5
	v_fma_f16 v8, v9, v11, v8
	s_delay_alu instid0(VALU_DEP_4) | instskip(NEXT) | instid1(VALU_DEP_4)
	v_fmac_f16_e32 v12, v4, v10
	v_fmac_f16_e32 v13, v9, v4
	s_delay_alu instid0(VALU_DEP_4) | instskip(NEXT) | instid1(VALU_DEP_4)
	v_fmac_f16_e32 v7, v9, v4
	v_fma_f16 v8, -v4, v10, v8
	v_dual_mov_b32 v5, v1 :: v_dual_mov_b32 v4, v0
	s_delay_alu instid0(VALU_DEP_4)
	v_pack_b32_f16 v9, v12, v13
	ds_store_b32 v6, v9 offset:7056
.LBB0_15:
	s_wait_alu 0xfffe
	s_and_not1_saveexec_b32 s0, s1
	s_cbranch_execz .LBB0_17
; %bb.16:
	v_mov_b32_e32 v1, 0
	ds_load_b32 v4, v1 offset:3528
	s_wait_dscnt 0x0
	v_pk_mul_f16 v9, 0xc0004000, v4
	v_mov_b32_e32 v4, 0
	v_mov_b32_e32 v5, 0
	ds_store_b32 v1, v9 offset:3528
.LBB0_17:
	s_wait_alu 0xfffe
	s_or_b32 exec_lo, exec_lo, s0
	v_lshlrev_b64_e32 v[4:5], 2, v[4:5]
	s_add_nc_u64 s[0:1], s[4:5], 0x1b88
	v_add_nc_u32_e32 v23, 0xa00, v16
	v_add_nc_u32_e32 v24, 0xe00, v16
	;; [unrolled: 1-line block ×4, first 2 shown]
	s_wait_alu 0xfffe
	v_add_co_u32 v4, s0, s0, v4
	s_wait_alu 0xf1ff
	v_add_co_ci_u32_e64 v5, s0, s1, v5, s0
	v_add_nc_u32_e32 v27, 0x600, v16
	v_add_nc_u32_e32 v28, 0x1600, v16
	v_and_b32_e32 v31, 1, v0
	s_clause 0x5
	global_load_b32 v1, v[4:5], off offset:504
	global_load_b32 v9, v[4:5], off offset:1008
	;; [unrolled: 1-line block ×6, first 2 shown]
	v_perm_b32 v5, v7, v8, 0x5040100
	v_add_nc_u32_e32 v19, 0xfc, v0
	v_add_nc_u32_e32 v20, 0x17a, v0
	;; [unrolled: 1-line block ×4, first 2 shown]
	ds_store_b32 v16, v5
	ds_load_b32 v5, v16 offset:504
	ds_load_b32 v7, v6 offset:6552
	v_lshl_add_u32 v30, v0, 2, v16
	v_lshlrev_b32_e32 v38, 2, v31
	v_lshl_add_u32 v33, v19, 3, 0
	v_lshl_add_u32 v34, v20, 3, 0
	;; [unrolled: 1-line block ×4, first 2 shown]
	v_cmp_gt_u32_e64 s0, 0x54, v0
	s_wait_dscnt 0x1
	v_lshrrev_b32_e32 v8, 16, v5
	s_wait_dscnt 0x0
	v_lshrrev_b32_e32 v13, 16, v7
	v_add_f16_e32 v14, v5, v7
	v_sub_f16_e32 v5, v5, v7
	s_delay_alu instid0(VALU_DEP_3) | instskip(SKIP_3) | instid1(VALU_DEP_1)
	v_add_f16_e32 v7, v13, v8
	v_sub_f16_e32 v8, v8, v13
	s_wait_loadcnt 0x5
	v_lshrrev_b32_e32 v15, 16, v1
	v_fma_f16 v13, v5, v15, v14
	s_delay_alu instid0(VALU_DEP_3) | instskip(SKIP_2) | instid1(VALU_DEP_4)
	v_fma_f16 v17, v7, v15, v8
	v_fma_f16 v14, -v5, v15, v14
	v_fma_f16 v8, v7, v15, -v8
	v_fma_f16 v13, -v1, v7, v13
	s_delay_alu instid0(VALU_DEP_4) | instskip(NEXT) | instid1(VALU_DEP_4)
	v_fmac_f16_e32 v17, v5, v1
	v_fmac_f16_e32 v14, v1, v7
	s_delay_alu instid0(VALU_DEP_4) | instskip(NEXT) | instid1(VALU_DEP_3)
	v_fmac_f16_e32 v8, v5, v1
	v_pack_b32_f16 v1, v13, v17
	s_wait_loadcnt 0x4
	v_lshrrev_b32_e32 v13, 16, v9
	s_delay_alu instid0(VALU_DEP_3)
	v_pack_b32_f16 v5, v14, v8
	v_add_nc_u32_e32 v17, 0x1f8, v0
	ds_store_b32 v16, v1 offset:504
	ds_store_b32 v6, v5 offset:6552
	ds_load_b32 v1, v16 offset:1008
	ds_load_b32 v5, v6 offset:6048
	v_lshl_add_u32 v35, v17, 3, 0
	s_wait_dscnt 0x1
	v_lshrrev_b32_e32 v7, 16, v1
	s_wait_dscnt 0x0
	v_lshrrev_b32_e32 v8, 16, v5
	v_add_f16_e32 v14, v1, v5
	v_sub_f16_e32 v1, v1, v5
	s_delay_alu instid0(VALU_DEP_3) | instskip(SKIP_1) | instid1(VALU_DEP_3)
	v_add_f16_e32 v5, v8, v7
	v_sub_f16_e32 v7, v7, v8
	v_fma_f16 v8, v1, v13, v14
	v_fma_f16 v14, -v1, v13, v14
	s_delay_alu instid0(VALU_DEP_3) | instskip(SKIP_1) | instid1(VALU_DEP_4)
	v_fma_f16 v15, v5, v13, v7
	v_fma_f16 v7, v5, v13, -v7
	v_fma_f16 v8, -v9, v5, v8
	s_delay_alu instid0(VALU_DEP_4) | instskip(NEXT) | instid1(VALU_DEP_4)
	v_fmac_f16_e32 v14, v9, v5
	v_fmac_f16_e32 v15, v1, v9
	s_delay_alu instid0(VALU_DEP_4) | instskip(SKIP_2) | instid1(VALU_DEP_3)
	v_fmac_f16_e32 v7, v1, v9
	s_wait_loadcnt 0x3
	v_lshrrev_b32_e32 v9, 16, v10
	v_pack_b32_f16 v1, v8, v15
	s_delay_alu instid0(VALU_DEP_3)
	v_pack_b32_f16 v5, v14, v7
	ds_store_b32 v16, v1 offset:1008
	ds_store_b32 v6, v5 offset:6048
	ds_load_b32 v1, v16 offset:1512
	ds_load_b32 v5, v6 offset:5544
	s_wait_dscnt 0x1
	v_lshrrev_b32_e32 v7, 16, v1
	s_wait_dscnt 0x0
	v_lshrrev_b32_e32 v8, 16, v5
	v_add_f16_e32 v13, v1, v5
	v_sub_f16_e32 v1, v1, v5
	s_delay_alu instid0(VALU_DEP_3) | instskip(SKIP_1) | instid1(VALU_DEP_3)
	v_add_f16_e32 v5, v8, v7
	v_sub_f16_e32 v7, v7, v8
	v_fma_f16 v8, v1, v9, v13
	v_fma_f16 v13, -v1, v9, v13
	s_delay_alu instid0(VALU_DEP_3) | instskip(SKIP_1) | instid1(VALU_DEP_4)
	v_fma_f16 v14, v5, v9, v7
	v_fma_f16 v7, v5, v9, -v7
	v_fma_f16 v8, -v10, v5, v8
	s_delay_alu instid0(VALU_DEP_4) | instskip(SKIP_4) | instid1(VALU_DEP_2)
	v_fmac_f16_e32 v13, v10, v5
	s_wait_loadcnt 0x2
	v_lshrrev_b32_e32 v9, 16, v11
	v_fmac_f16_e32 v14, v1, v10
	v_fmac_f16_e32 v7, v1, v10
	v_pack_b32_f16 v1, v8, v14
	s_delay_alu instid0(VALU_DEP_2)
	v_pack_b32_f16 v5, v13, v7
	ds_store_b32 v16, v1 offset:1512
	ds_store_b32 v6, v5 offset:5544
	ds_load_b32 v1, v16 offset:2016
	ds_load_b32 v5, v6 offset:5040
	s_wait_dscnt 0x1
	v_lshrrev_b32_e32 v7, 16, v1
	s_wait_dscnt 0x0
	v_lshrrev_b32_e32 v8, 16, v5
	v_add_f16_e32 v10, v1, v5
	v_sub_f16_e32 v1, v1, v5
	s_delay_alu instid0(VALU_DEP_3) | instskip(SKIP_1) | instid1(VALU_DEP_3)
	v_add_f16_e32 v5, v8, v7
	v_sub_f16_e32 v7, v7, v8
	v_fma_f16 v8, v1, v9, v10
	v_fma_f16 v10, -v1, v9, v10
	s_delay_alu instid0(VALU_DEP_3) | instskip(SKIP_1) | instid1(VALU_DEP_4)
	v_fma_f16 v13, v5, v9, v7
	v_fma_f16 v7, v5, v9, -v7
	v_fma_f16 v8, -v11, v5, v8
	s_delay_alu instid0(VALU_DEP_4) | instskip(SKIP_4) | instid1(VALU_DEP_2)
	v_fmac_f16_e32 v10, v11, v5
	s_wait_loadcnt 0x1
	v_lshrrev_b32_e32 v9, 16, v12
	v_fmac_f16_e32 v13, v1, v11
	v_fmac_f16_e32 v7, v1, v11
	v_pack_b32_f16 v1, v8, v13
	s_delay_alu instid0(VALU_DEP_2)
	v_pack_b32_f16 v5, v10, v7
	ds_store_b32 v16, v1 offset:2016
	ds_store_b32 v6, v5 offset:5040
	ds_load_b32 v1, v16 offset:2520
	ds_load_b32 v5, v6 offset:4536
	s_wait_dscnt 0x1
	v_lshrrev_b32_e32 v7, 16, v1
	s_wait_dscnt 0x0
	v_lshrrev_b32_e32 v8, 16, v5
	v_add_f16_e32 v10, v1, v5
	v_sub_f16_e32 v1, v1, v5
	s_delay_alu instid0(VALU_DEP_3) | instskip(SKIP_1) | instid1(VALU_DEP_3)
	v_add_f16_e32 v5, v8, v7
	v_sub_f16_e32 v7, v7, v8
	v_fma_f16 v8, v1, v9, v10
	v_fma_f16 v10, -v1, v9, v10
	s_delay_alu instid0(VALU_DEP_3) | instskip(SKIP_1) | instid1(VALU_DEP_4)
	v_fma_f16 v11, v5, v9, v7
	v_fma_f16 v7, v5, v9, -v7
	v_fma_f16 v8, -v12, v5, v8
	s_delay_alu instid0(VALU_DEP_4) | instskip(NEXT) | instid1(VALU_DEP_4)
	v_fmac_f16_e32 v10, v12, v5
	v_fmac_f16_e32 v11, v1, v12
	s_delay_alu instid0(VALU_DEP_4) | instskip(NEXT) | instid1(VALU_DEP_2)
	v_fmac_f16_e32 v7, v1, v12
	v_pack_b32_f16 v1, v8, v11
	s_delay_alu instid0(VALU_DEP_2)
	v_pack_b32_f16 v5, v10, v7
	ds_store_b32 v16, v1 offset:2520
	ds_store_b32 v6, v5 offset:4536
	ds_load_b32 v5, v16 offset:3024
	ds_load_b32 v7, v6 offset:4032
	s_wait_loadcnt 0x0
	v_lshrrev_b32_e32 v10, 16, v4
	v_add_nc_u32_e32 v1, 0x7e, v0
	s_delay_alu instid0(VALU_DEP_1)
	v_lshl_add_u32 v32, v1, 3, 0
	s_wait_dscnt 0x1
	v_lshrrev_b32_e32 v8, 16, v5
	s_wait_dscnt 0x0
	v_lshrrev_b32_e32 v9, 16, v7
	v_add_f16_e32 v11, v5, v7
	v_sub_f16_e32 v5, v5, v7
	s_delay_alu instid0(VALU_DEP_3) | instskip(SKIP_1) | instid1(VALU_DEP_3)
	v_add_f16_e32 v7, v9, v8
	v_sub_f16_e32 v8, v8, v9
	v_fma_f16 v9, v5, v10, v11
	v_fma_f16 v11, -v5, v10, v11
	s_delay_alu instid0(VALU_DEP_3) | instskip(SKIP_1) | instid1(VALU_DEP_4)
	v_fma_f16 v12, v7, v10, v8
	v_fma_f16 v8, v7, v10, -v8
	v_fma_f16 v9, -v4, v7, v9
	s_delay_alu instid0(VALU_DEP_4) | instskip(NEXT) | instid1(VALU_DEP_4)
	v_fmac_f16_e32 v11, v4, v7
	v_fmac_f16_e32 v12, v5, v4
	s_delay_alu instid0(VALU_DEP_4) | instskip(NEXT) | instid1(VALU_DEP_2)
	v_fmac_f16_e32 v8, v5, v4
	v_pack_b32_f16 v4, v9, v12
	s_delay_alu instid0(VALU_DEP_2)
	v_pack_b32_f16 v5, v11, v8
	ds_store_b32 v16, v4 offset:3024
	ds_store_b32 v6, v5 offset:4032
	global_wb scope:SCOPE_SE
	s_wait_dscnt 0x0
	s_barrier_signal -1
	s_barrier_wait -1
	global_inv scope:SCOPE_SE
	global_wb scope:SCOPE_SE
	s_barrier_signal -1
	s_barrier_wait -1
	global_inv scope:SCOPE_SE
	ds_load_2addr_b32 v[4:5], v16 offset1:126
	ds_load_2addr_b32 v[6:7], v23 offset0:116 offset1:242
	ds_load_2addr_b32 v[8:9], v24 offset0:112 offset1:238
	;; [unrolled: 1-line block ×6, first 2 shown]
	global_wb scope:SCOPE_SE
	s_wait_dscnt 0x0
	s_barrier_signal -1
	s_barrier_wait -1
	global_inv scope:SCOPE_SE
	v_pk_add_f16 v7, v4, v7 neg_lo:[0,1] neg_hi:[0,1]
	v_pk_add_f16 v8, v5, v8 neg_lo:[0,1] neg_hi:[0,1]
	;; [unrolled: 1-line block ×7, first 2 shown]
	v_pk_fma_f16 v4, v4, 2.0, v7 op_sel_hi:[1,0,1] neg_lo:[0,0,1] neg_hi:[0,0,1]
	v_pk_fma_f16 v5, v5, 2.0, v8 op_sel_hi:[1,0,1] neg_lo:[0,0,1] neg_hi:[0,0,1]
	;; [unrolled: 1-line block ×7, first 2 shown]
	ds_store_2addr_b32 v30, v4, v7 offset1:1
	ds_store_2addr_b32 v32, v5, v8 offset1:1
	;; [unrolled: 1-line block ×7, first 2 shown]
	global_wb scope:SCOPE_SE
	s_wait_dscnt 0x0
	s_barrier_signal -1
	s_barrier_wait -1
	global_inv scope:SCOPE_SE
	global_load_b32 v21, v38, s[4:5]
	v_lshlrev_b32_e32 v4, 1, v0
	v_lshlrev_b32_e32 v5, 1, v1
	;; [unrolled: 1-line block ×5, first 2 shown]
	v_and_or_b32 v4, 0xfc, v4, v31
	v_lshlrev_b32_e32 v9, 1, v18
	v_lshlrev_b32_e32 v10, 1, v29
	v_and_or_b32 v12, 0x1fc, v5, v31
	v_and_or_b32 v13, 0x3fc, v6, v31
	v_lshl_add_u32 v29, v4, 2, 0
	v_and_or_b32 v14, 0x3fc, v7, v31
	ds_load_2addr_b32 v[4:5], v28 offset0:104 offset1:230
	v_and_or_b32 v15, 0x7fc, v8, v31
	ds_load_2addr_b32 v[6:7], v26 offset0:108 offset1:234
	;; [unrolled: 2-line block ×4, first 2 shown]
	v_lshl_add_u32 v31, v12, 2, 0
	v_lshl_add_u32 v33, v13, 2, 0
	v_lshl_add_u32 v34, v14, 2, 0
	v_lshl_add_u32 v35, v15, 2, 0
	ds_load_2addr_b32 v[12:13], v16 offset1:126
	ds_load_2addr_b32 v[14:15], v25 offset0:124 offset1:250
	ds_load_2addr_b32 v[23:24], v27 offset0:120 offset1:246
	v_lshl_add_u32 v36, v18, 2, 0
	v_lshl_add_u32 v37, v22, 2, 0
	v_add_nc_u32_e32 v30, 0x800, v16
	v_add_nc_u32_e32 v32, 0xc00, v16
	global_wb scope:SCOPE_SE
	s_wait_loadcnt_dscnt 0x0
	s_barrier_signal -1
	s_barrier_wait -1
	global_inv scope:SCOPE_SE
	v_pk_mul_f16 v18, v21, v5 op_sel:[0,1]
	v_pk_mul_f16 v22, v21, v4 op_sel:[0,1]
	;; [unrolled: 1-line block ×7, first 2 shown]
	v_pk_fma_f16 v42, v21, v5, v18 op_sel:[0,0,1] op_sel_hi:[1,1,0]
	v_pk_fma_f16 v5, v21, v5, v18 op_sel:[0,0,1] op_sel_hi:[1,0,0] neg_lo:[1,0,0] neg_hi:[1,0,0]
	v_pk_fma_f16 v18, v21, v4, v22 op_sel:[0,0,1] op_sel_hi:[1,1,0]
	v_pk_fma_f16 v4, v21, v4, v22 op_sel:[0,0,1] op_sel_hi:[1,0,0] neg_lo:[1,0,0] neg_hi:[1,0,0]
	;; [unrolled: 2-line block ×7, first 2 shown]
	v_bfi_b32 v5, 0xffff, v42, v5
	v_bfi_b32 v7, 0xffff, v22, v7
	;; [unrolled: 1-line block ×7, first 2 shown]
	v_pk_add_f16 v22, v10, v5 neg_lo:[0,1] neg_hi:[0,1]
	v_pk_add_f16 v5, v23, v7 neg_lo:[0,1] neg_hi:[0,1]
	;; [unrolled: 1-line block ×7, first 2 shown]
	v_pk_fma_f16 v11, v12, 2.0, v7 op_sel_hi:[1,0,1] neg_lo:[0,0,1] neg_hi:[0,0,1]
	v_pk_fma_f16 v12, v13, 2.0, v8 op_sel_hi:[1,0,1] neg_lo:[0,0,1] neg_hi:[0,0,1]
	v_pk_fma_f16 v13, v14, 2.0, v9 op_sel_hi:[1,0,1] neg_lo:[0,0,1] neg_hi:[0,0,1]
	v_pk_fma_f16 v14, v15, 2.0, v6 op_sel_hi:[1,0,1] neg_lo:[0,0,1] neg_hi:[0,0,1]
	v_pk_fma_f16 v18, v10, 2.0, v22 op_sel_hi:[1,0,1] neg_lo:[0,0,1] neg_hi:[0,0,1]
	v_pk_fma_f16 v10, v24, 2.0, v4 op_sel_hi:[1,0,1] neg_lo:[0,0,1] neg_hi:[0,0,1]
	v_pk_fma_f16 v15, v23, 2.0, v5 op_sel_hi:[1,0,1] neg_lo:[0,0,1] neg_hi:[0,0,1]
	ds_store_2addr_b32 v29, v11, v7 offset1:2
	ds_store_2addr_b32 v31, v12, v8 offset1:2
	;; [unrolled: 1-line block ×7, first 2 shown]
	global_wb scope:SCOPE_SE
	s_wait_dscnt 0x0
	s_barrier_signal -1
	s_barrier_wait -1
	global_inv scope:SCOPE_SE
	ds_load_2addr_b32 v[4:5], v16 offset1:126
	ds_load_2addr_b32 v[14:15], v30 offset0:76 offset1:202
	ds_load_2addr_b32 v[12:13], v26 offset0:24 offset1:150
	;; [unrolled: 1-line block ×5, first 2 shown]
	v_lshrrev_b32_e32 v21, 16, v18
	v_lshrrev_b32_e32 v23, 16, v22
                                        ; implicit-def: $vgpr25
                                        ; implicit-def: $vgpr24
	s_and_saveexec_b32 s1, s0
	s_cbranch_execz .LBB0_19
; %bb.18:
	ds_load_b32 v18, v16 offset:2016
	ds_load_b32 v22, v16 offset:4368
	;; [unrolled: 1-line block ×3, first 2 shown]
	s_wait_dscnt 0x2
	v_lshrrev_b32_e32 v21, 16, v18
	s_wait_dscnt 0x1
	v_lshrrev_b32_e32 v23, 16, v22
	;; [unrolled: 2-line block ×3, first 2 shown]
.LBB0_19:
	s_wait_alu 0xfffe
	s_or_b32 exec_lo, exec_lo, s1
	v_and_b32_e32 v26, 3, v0
	v_and_b32_e32 v29, 3, v20
	;; [unrolled: 1-line block ×3, first 2 shown]
	v_lshrrev_b32_e32 v48, 2, v1
	v_lshrrev_b32_e32 v49, 2, v19
	v_lshlrev_b32_e32 v27, 3, v26
	v_lshlrev_b32_e32 v30, 3, v29
	v_lshlrev_b32_e32 v35, 3, v34
	v_lshrrev_b32_e32 v50, 2, v20
	v_mul_u32_u24_e32 v48, 12, v48
	s_clause 0x4
	global_load_b64 v[27:28], v27, s[4:5] offset:8
	global_load_b32 v31, v30, s[4:5] offset:8
	global_load_b32 v32, v30, s[4:5] offset:10
	;; [unrolled: 1-line block ×3, first 2 shown]
	global_load_u16 v30, v30, s[4:5] offset:14
	v_mul_u32_u24_e32 v49, 12, v49
	global_load_u16 v35, v35, s[4:5] offset:8
	v_mul_u32_u24_e32 v50, 12, v50
	s_wait_dscnt 0x4
	v_lshrrev_b32_e32 v40, 16, v14
	s_wait_dscnt 0x3
	v_lshrrev_b32_e32 v41, 16, v12
	;; [unrolled: 2-line block ×4, first 2 shown]
	v_or_b32_e32 v34, v48, v34
	v_or_b32_e32 v48, v49, v26
	;; [unrolled: 1-line block ×3, first 2 shown]
	v_lshrrev_b32_e32 v42, 16, v15
	v_lshrrev_b32_e32 v43, 16, v13
	;; [unrolled: 1-line block ×9, first 2 shown]
	v_lshl_add_u32 v34, v34, 2, 0
	v_lshl_add_u32 v48, v48, 2, 0
	global_wb scope:SCOPE_SE
	s_wait_loadcnt 0x0
	s_barrier_signal -1
	v_mul_u32_u24_e32 v47, 12, v47
	s_barrier_wait -1
	global_inv scope:SCOPE_SE
	v_lshl_add_u32 v29, v29, 2, 0
	v_or_b32_e32 v47, v47, v26
	s_delay_alu instid0(VALU_DEP_1)
	v_lshl_add_u32 v47, v47, 2, 0
	v_lshrrev_b32_e32 v49, 16, v27
	v_lshrrev_b32_e32 v50, 16, v28
	;; [unrolled: 1-line block ×5, first 2 shown]
	v_mul_f16_e32 v55, v32, v46
	v_mul_f16_e32 v32, v32, v11
	;; [unrolled: 1-line block ×16, first 2 shown]
	v_fmac_f16_e32 v55, v31, v11
	v_fma_f16 v11, v31, v46, -v32
	v_fmac_f16_e32 v56, v33, v9
	v_fma_f16 v9, v33, v51, -v30
	v_mul_f16_e32 v30, v23, v49
	v_mul_f16_e32 v31, v22, v49
	;; [unrolled: 1-line block ×4, first 2 shown]
	v_fmac_f16_e32 v57, v27, v14
	v_fma_f16 v14, v27, v40, -v58
	v_fmac_f16_e32 v59, v28, v12
	v_fma_f16 v12, v28, v41, -v60
	;; [unrolled: 2-line block ×8, first 2 shown]
	v_add_f16_e32 v24, v7, v55
	v_add_f16_e32 v25, v55, v56
	v_sub_f16_e32 v27, v11, v9
	v_add_f16_e32 v28, v39, v11
	v_add_f16_e32 v11, v11, v9
	v_add_f16_e32 v35, v57, v59
	v_sub_f16_e32 v40, v14, v12
	v_add_f16_e32 v41, v36, v14
	;; [unrolled: 4-line block ×4, first 2 shown]
	v_add_f16_e32 v10, v10, v8
	v_sub_f16_e32 v31, v55, v56
	v_add_f16_e32 v33, v4, v57
	v_sub_f16_e32 v42, v57, v59
	v_add_f16_e32 v24, v24, v56
	v_fmac_f16_e32 v7, -0.5, v25
	v_fmac_f16_e32 v39, -0.5, v11
	v_add_f16_e32 v11, v18, v30
	v_add_f16_e32 v25, v30, v32
	;; [unrolled: 1-line block ×3, first 2 shown]
	v_fma_f16 v4, -0.5, v35, v4
	v_fmac_f16_e32 v36, -0.5, v14
	v_add_f16_e32 v43, v5, v61
	v_sub_f16_e32 v49, v61, v62
	v_fmac_f16_e32 v5, -0.5, v44
	v_fmac_f16_e32 v37, -0.5, v15
	v_add_f16_e32 v50, v6, v63
	v_sub_f16_e32 v54, v63, v65
	v_fma_f16 v6, -0.5, v51, v6
	v_fmac_f16_e32 v38, -0.5, v10
	v_add_f16_e32 v9, v28, v9
	v_sub_f16_e32 v28, v22, v23
	v_add_f16_e32 v55, v21, v22
	v_sub_f16_e32 v30, v30, v32
	v_add_f16_e32 v33, v33, v59
	v_add_f16_e32 v12, v41, v12
	v_fmamk_f16 v10, v27, 0xbaee, v7
	v_fmac_f16_e32 v7, 0x3aee, v27
	v_fmamk_f16 v27, v31, 0x3aee, v39
	v_fmac_f16_e32 v39, 0xbaee, v31
	v_add_f16_e32 v22, v11, v32
	v_fmac_f16_e32 v18, -0.5, v25
	v_fmac_f16_e32 v21, -0.5, v56
	v_fmamk_f16 v11, v40, 0xbaee, v4
	v_fmamk_f16 v31, v42, 0x3aee, v36
	v_fmac_f16_e32 v4, 0x3aee, v40
	v_fmac_f16_e32 v36, 0xbaee, v42
	v_add_f16_e32 v14, v43, v62
	v_add_f16_e32 v13, v46, v13
	v_fmamk_f16 v32, v45, 0xbaee, v5
	v_fmamk_f16 v35, v49, 0x3aee, v37
	v_fmac_f16_e32 v5, 0x3aee, v45
	v_fmac_f16_e32 v37, 0xbaee, v49
	v_add_f16_e32 v15, v50, v65
	v_add_f16_e32 v8, v53, v8
	v_fmamk_f16 v40, v52, 0xbaee, v6
	v_fmamk_f16 v41, v54, 0x3aee, v38
	v_add_f16_e32 v23, v55, v23
	v_pack_b32_f16 v9, v24, v9
	v_fmac_f16_e32 v6, 0x3aee, v52
	v_fmac_f16_e32 v38, 0xbaee, v54
	v_fmamk_f16 v24, v28, 0xbaee, v18
	v_fmac_f16_e32 v18, 0x3aee, v28
	v_fmamk_f16 v25, v30, 0x3aee, v21
	v_fmac_f16_e32 v21, 0xbaee, v30
	v_pack_b32_f16 v12, v33, v12
	v_pack_b32_f16 v11, v11, v31
	;; [unrolled: 1-line block ×11, first 2 shown]
	ds_store_2addr_b32 v47, v12, v11 offset1:4
	ds_store_b32 v47, v4 offset:32
	ds_store_2addr_b32 v34, v13, v14 offset1:4
	ds_store_b32 v34, v5 offset:32
	;; [unrolled: 2-line block ×4, first 2 shown]
	s_and_saveexec_b32 s1, s0
	s_cbranch_execz .LBB0_21
; %bb.20:
	v_lshrrev_b32_e32 v4, 2, v17
	v_perm_b32 v5, v23, v22, 0x5040100
	v_perm_b32 v6, v25, v24, 0x5040100
	;; [unrolled: 1-line block ×3, first 2 shown]
	s_delay_alu instid0(VALU_DEP_4) | instskip(NEXT) | instid1(VALU_DEP_1)
	v_mul_u32_u24_e32 v4, 12, v4
	v_or_b32_e32 v4, v4, v26
	s_delay_alu instid0(VALU_DEP_1)
	v_lshl_add_u32 v4, v4, 2, 0
	ds_store_2addr_b32 v4, v5, v6 offset1:4
	ds_store_b32 v4, v7 offset:32
.LBB0_21:
	s_wait_alu 0xfffe
	s_or_b32 exec_lo, exec_lo, s1
	v_add_nc_u32_e32 v6, 0x800, v16
	v_add_nc_u32_e32 v7, 0x1200, v16
	;; [unrolled: 1-line block ×5, first 2 shown]
	global_wb scope:SCOPE_SE
	s_wait_dscnt 0x0
	s_barrier_signal -1
	s_barrier_wait -1
	global_inv scope:SCOPE_SE
	ds_load_2addr_b32 v[4:5], v16 offset1:126
	ds_load_2addr_b32 v[14:15], v6 offset0:76 offset1:202
	ds_load_2addr_b32 v[12:13], v7 offset0:24 offset1:150
	;; [unrolled: 1-line block ×5, first 2 shown]
	s_and_saveexec_b32 s1, s0
	s_cbranch_execz .LBB0_23
; %bb.22:
	ds_load_b32 v22, v16 offset:2016
	ds_load_b32 v24, v16 offset:4368
	ds_load_b32 v18, v16 offset:6720
	s_wait_dscnt 0x2
	v_lshrrev_b32_e32 v23, 16, v22
	s_wait_dscnt 0x1
	v_lshrrev_b32_e32 v25, 16, v24
	;; [unrolled: 2-line block ×3, first 2 shown]
.LBB0_23:
	s_wait_alu 0xfffe
	s_or_b32 exec_lo, exec_lo, s1
	v_and_b32_e32 v27, 0xff, v0
	v_and_b32_e32 v26, 0xff, v1
	;; [unrolled: 1-line block ×4, first 2 shown]
	s_wait_dscnt 0x4
	v_lshrrev_b32_e32 v47, 16, v14
	v_mul_lo_u16 v29, 0xab, v27
	v_mul_lo_u16 v31, 0xab, v26
	v_mul_u32_u24_e32 v28, 0xaaab, v28
	s_wait_dscnt 0x3
	v_lshrrev_b32_e32 v48, 16, v12
	v_lshrrev_b32_e32 v49, 16, v15
	v_lshrrev_b16 v34, 11, v29
	v_mul_u32_u24_e32 v29, 0xaaab, v30
	v_lshrrev_b16 v35, 11, v31
	v_lshrrev_b32_e32 v36, 19, v28
	v_lshrrev_b32_e32 v50, 16, v13
	v_mul_lo_u16 v28, v34, 12
	v_lshrrev_b32_e32 v37, 19, v29
	v_mul_lo_u16 v29, v35, 12
	v_mul_lo_u16 v30, v36, 12
	v_and_b32_e32 v34, 0xffff, v34
	v_sub_nc_u16 v28, v0, v28
	v_mul_lo_u16 v31, v37, 12
	v_sub_nc_u16 v29, v1, v29
	v_sub_nc_u16 v19, v19, v30
	v_and_b32_e32 v35, 0xffff, v35
	v_and_b32_e32 v38, 0xff, v28
	v_sub_nc_u16 v20, v20, v31
	v_and_b32_e32 v39, 0xff, v29
	v_and_b32_e32 v40, 0xffff, v19
	v_mul_u32_u24_e32 v34, 0x90, v34
	v_lshlrev_b32_e32 v19, 3, v38
	v_and_b32_e32 v41, 0xffff, v20
	v_lshlrev_b32_e32 v28, 3, v39
	v_lshlrev_b32_e32 v30, 3, v40
	v_mul_u32_u24_e32 v35, 0x90, v35
	global_load_b64 v[19:20], v19, s[4:5] offset:40
	v_lshlrev_b32_e32 v32, 3, v41
	v_lshlrev_b32_e32 v38, 2, v38
	s_clause 0x2
	global_load_b64 v[28:29], v28, s[4:5] offset:40
	global_load_b64 v[30:31], v30, s[4:5] offset:40
	;; [unrolled: 1-line block ×3, first 2 shown]
	v_lshlrev_b32_e32 v39, 2, v39
	v_mul_u32_u24_e32 v36, 0x90, v36
	v_mul_u32_u24_e32 v37, 0x90, v37
	v_lshlrev_b32_e32 v40, 2, v40
	v_lshlrev_b32_e32 v41, 2, v41
	v_add3_u32 v34, 0, v34, v38
	v_add3_u32 v35, 0, v35, v39
	s_wait_dscnt 0x1
	v_lshrrev_b32_e32 v51, 16, v10
	v_add3_u32 v36, 0, v36, v40
	v_add3_u32 v37, 0, v37, v41
	s_wait_dscnt 0x0
	v_lshrrev_b32_e32 v52, 16, v8
	v_lshrrev_b32_e32 v46, 16, v9
	;; [unrolled: 1-line block ×7, first 2 shown]
	global_wb scope:SCOPE_SE
	s_wait_loadcnt 0x0
	s_barrier_signal -1
	s_barrier_wait -1
	global_inv scope:SCOPE_SE
	v_lshrrev_b32_e32 v38, 16, v19
	v_lshrrev_b32_e32 v39, 16, v20
	;; [unrolled: 1-line block ×8, first 2 shown]
	v_mul_f16_e32 v58, v38, v47
	v_mul_f16_e32 v38, v38, v14
	;; [unrolled: 1-line block ×16, first 2 shown]
	v_fmac_f16_e32 v58, v19, v14
	v_fma_f16 v14, v19, v47, -v38
	v_fmac_f16_e32 v59, v20, v12
	v_fma_f16 v12, v20, v48, -v39
	;; [unrolled: 2-line block ×8, first 2 shown]
	v_add_f16_e32 v20, v58, v59
	v_sub_f16_e32 v28, v14, v12
	v_add_f16_e32 v29, v42, v14
	v_add_f16_e32 v14, v14, v12
	v_add_f16_e32 v32, v60, v61
	v_sub_f16_e32 v33, v15, v13
	v_add_f16_e32 v38, v43, v15
	v_add_f16_e32 v15, v15, v13
	;; [unrolled: 4-line block ×4, first 2 shown]
	v_sub_f16_e32 v51, v11, v9
	v_add_f16_e32 v52, v45, v11
	v_add_f16_e32 v11, v11, v9
	v_fma_f16 v4, -0.5, v20, v4
	v_fmac_f16_e32 v42, -0.5, v14
	v_add_f16_e32 v31, v5, v60
	v_sub_f16_e32 v39, v60, v61
	v_fmac_f16_e32 v5, -0.5, v32
	v_fmac_f16_e32 v43, -0.5, v15
	v_add_f16_e32 v40, v6, v62
	v_sub_f16_e32 v48, v62, v63
	v_fma_f16 v6, -0.5, v41, v6
	v_fmac_f16_e32 v44, -0.5, v10
	v_sub_f16_e32 v53, v64, v65
	v_add_f16_e32 v19, v19, v59
	v_add_f16_e32 v12, v29, v12
	;; [unrolled: 1-line block ×3, first 2 shown]
	v_fmac_f16_e32 v7, -0.5, v50
	v_add_f16_e32 v9, v52, v9
	v_fmac_f16_e32 v45, -0.5, v11
	v_fmamk_f16 v11, v28, 0xbaee, v4
	v_fmamk_f16 v20, v30, 0x3aee, v42
	v_fmac_f16_e32 v4, 0x3aee, v28
	v_fmac_f16_e32 v42, 0xbaee, v30
	v_add_f16_e32 v14, v31, v61
	v_add_f16_e32 v13, v38, v13
	v_fmamk_f16 v28, v33, 0xbaee, v5
	v_fmamk_f16 v29, v39, 0x3aee, v43
	v_fmac_f16_e32 v5, 0x3aee, v33
	v_fmac_f16_e32 v43, 0xbaee, v39
	v_add_f16_e32 v15, v40, v63
	v_add_f16_e32 v8, v47, v8
	v_fmamk_f16 v30, v46, 0xbaee, v6
	v_fmamk_f16 v31, v48, 0x3aee, v44
	v_fmac_f16_e32 v6, 0x3aee, v46
	v_fmac_f16_e32 v44, 0xbaee, v48
	v_fmamk_f16 v32, v51, 0xbaee, v7
	v_fmac_f16_e32 v7, 0x3aee, v51
	v_fmamk_f16 v33, v53, 0x3aee, v45
	v_fmac_f16_e32 v45, 0xbaee, v53
	v_pack_b32_f16 v12, v19, v12
	v_pack_b32_f16 v9, v10, v9
	;; [unrolled: 1-line block ×12, first 2 shown]
	ds_store_2addr_b32 v34, v12, v10 offset1:12
	ds_store_b32 v34, v4 offset:96
	ds_store_2addr_b32 v35, v13, v11 offset1:12
	ds_store_b32 v35, v5 offset:96
	ds_store_2addr_b32 v36, v8, v14 offset1:12
	ds_store_b32 v36, v6 offset:96
	ds_store_2addr_b32 v37, v9, v15 offset1:12
	ds_store_b32 v37, v7 offset:96
	s_and_saveexec_b32 s1, s0
	s_cbranch_execz .LBB0_25
; %bb.24:
	v_and_b32_e32 v4, 0xffff, v17
	s_delay_alu instid0(VALU_DEP_1) | instskip(NEXT) | instid1(VALU_DEP_1)
	v_mul_u32_u24_e32 v4, 0xaaab, v4
	v_lshrrev_b32_e32 v6, 19, v4
	s_delay_alu instid0(VALU_DEP_1) | instskip(SKIP_1) | instid1(VALU_DEP_2)
	v_mul_lo_u16 v4, v6, 12
	v_mul_lo_u16 v6, v6, 36
	v_sub_nc_u16 v4, v17, v4
	s_delay_alu instid0(VALU_DEP_2) | instskip(NEXT) | instid1(VALU_DEP_2)
	v_and_b32_e32 v6, 0xffff, v6
	v_and_b32_e32 v7, 0xffff, v4
	s_delay_alu instid0(VALU_DEP_2) | instskip(NEXT) | instid1(VALU_DEP_2)
	v_lshlrev_b32_e32 v6, 2, v6
	v_lshlrev_b32_e32 v4, 3, v7
	;; [unrolled: 1-line block ×3, first 2 shown]
	global_load_b64 v[4:5], v4, s[4:5] offset:40
	v_add3_u32 v6, 0, v7, v6
	s_wait_loadcnt 0x0
	v_lshrrev_b32_e32 v8, 16, v4
	v_lshrrev_b32_e32 v9, 16, v5
	s_delay_alu instid0(VALU_DEP_2) | instskip(NEXT) | instid1(VALU_DEP_2)
	v_mul_f16_e32 v10, v25, v8
	v_mul_f16_e32 v11, v21, v9
	;; [unrolled: 1-line block ×4, first 2 shown]
	s_delay_alu instid0(VALU_DEP_4) | instskip(NEXT) | instid1(VALU_DEP_4)
	v_fmac_f16_e32 v10, v24, v4
	v_fmac_f16_e32 v11, v18, v5
	s_delay_alu instid0(VALU_DEP_4) | instskip(NEXT) | instid1(VALU_DEP_4)
	v_fma_f16 v4, v25, v4, -v8
	v_fma_f16 v5, v21, v5, -v9
	s_delay_alu instid0(VALU_DEP_3) | instskip(SKIP_1) | instid1(VALU_DEP_3)
	v_add_f16_e32 v12, v10, v11
	v_sub_f16_e32 v8, v10, v11
	v_add_f16_e32 v9, v4, v5
	v_sub_f16_e32 v13, v4, v5
	v_add_f16_e32 v4, v23, v4
	v_add_f16_e32 v10, v22, v10
	v_fma_f16 v12, -0.5, v12, v22
	v_fma_f16 v9, -0.5, v9, v23
	s_delay_alu instid0(VALU_DEP_4) | instskip(NEXT) | instid1(VALU_DEP_4)
	v_add_f16_e32 v4, v4, v5
	v_add_f16_e32 v5, v10, v11
	s_delay_alu instid0(VALU_DEP_4) | instskip(NEXT) | instid1(VALU_DEP_4)
	v_fmamk_f16 v11, v13, 0xbaee, v12
	v_fmamk_f16 v10, v8, 0x3aee, v9
	v_fmac_f16_e32 v9, 0xbaee, v8
	v_fmac_f16_e32 v12, 0x3aee, v13
	v_pack_b32_f16 v4, v5, v4
	s_delay_alu instid0(VALU_DEP_4) | instskip(NEXT) | instid1(VALU_DEP_3)
	v_pack_b32_f16 v5, v11, v10
	v_pack_b32_f16 v7, v12, v9
	ds_store_2addr_b32 v6, v4, v5 offset1:12
	ds_store_b32 v6, v7 offset:96
.LBB0_25:
	s_wait_alu 0xfffe
	s_or_b32 exec_lo, exec_lo, s1
	v_mul_lo_u16 v4, v27, 57
	global_wb scope:SCOPE_SE
	s_wait_dscnt 0x0
	s_barrier_signal -1
	s_barrier_wait -1
	global_inv scope:SCOPE_SE
	v_lshrrev_b16 v15, 11, v4
	v_mul_lo_u16 v4, v26, 57
	v_add_nc_u32_e32 v6, 0xa00, v16
	v_add_nc_u32_e32 v7, 0xe00, v16
	;; [unrolled: 1-line block ×3, first 2 shown]
	v_mul_lo_u16 v5, v15, 36
	v_lshrrev_b16 v37, 11, v4
	v_and_b32_e32 v15, 0xffff, v15
	v_mul_u32_u24_e32 v40, 6, v0
	s_delay_alu instid0(VALU_DEP_4) | instskip(NEXT) | instid1(VALU_DEP_4)
	v_sub_nc_u16 v4, v0, v5
	v_mul_lo_u16 v5, v37, 36
	v_and_b32_e32 v37, 0xffff, v37
	v_mul_u32_u24_e32 v15, 0x3f0, v15
	v_lshlrev_b32_e32 v40, 2, v40
	v_and_b32_e32 v38, 0xff, v4
	v_sub_nc_u16 v1, v1, v5
	v_add_nc_u32_e32 v5, 0x600, v16
	v_mul_u32_u24_e32 v37, 0x3f0, v37
	s_delay_alu instid0(VALU_DEP_4) | instskip(NEXT) | instid1(VALU_DEP_4)
	v_mul_u32_u24_e32 v4, 6, v38
	v_and_b32_e32 v39, 0xff, v1
	v_lshlrev_b32_e32 v38, 2, v38
	s_delay_alu instid0(VALU_DEP_3) | instskip(NEXT) | instid1(VALU_DEP_3)
	v_lshlrev_b32_e32 v1, 2, v4
	v_mul_u32_u24_e32 v4, 6, v39
	v_lshlrev_b32_e32 v39, 2, v39
	s_delay_alu instid0(VALU_DEP_4)
	v_add3_u32 v15, 0, v15, v38
	global_load_b128 v[9:12], v1, s[4:5] offset:136
	v_lshlrev_b32_e32 v4, 2, v4
	v_add3_u32 v37, 0, v37, v39
	s_clause 0x2
	global_load_b64 v[13:14], v1, s[4:5] offset:152
	global_load_b128 v[17:20], v4, s[4:5] offset:136
	global_load_b64 v[21:22], v4, s[4:5] offset:152
	v_add_nc_u32_e32 v1, 0x1600, v16
	v_add_nc_u32_e32 v4, 0x200, v16
	ds_load_2addr_b32 v[23:24], v16 offset1:126
	ds_load_2addr_b32 v[25:26], v1 offset0:104 offset1:230
	ds_load_2addr_b32 v[27:28], v4 offset0:124 offset1:250
	;; [unrolled: 1-line block ×6, first 2 shown]
	global_wb scope:SCOPE_SE
	s_wait_loadcnt_dscnt 0x0
	s_barrier_signal -1
	s_barrier_wait -1
	global_inv scope:SCOPE_SE
	v_lshrrev_b32_e32 v43, 16, v25
	v_lshrrev_b32_e32 v50, 16, v27
	;; [unrolled: 1-line block ×26, first 2 shown]
	v_mul_f16_e32 v65, v38, v50
	v_mul_f16_e32 v38, v38, v27
	;; [unrolled: 1-line block ×24, first 2 shown]
	v_fmac_f16_e32 v65, v9, v27
	v_fma_f16 v9, v9, v50, -v38
	v_fmac_f16_e32 v66, v10, v29
	v_fma_f16 v10, v10, v51, -v39
	;; [unrolled: 2-line block ×12, first 2 shown]
	v_add_f16_e32 v25, v65, v70
	v_add_f16_e32 v26, v9, v14
	v_sub_f16_e32 v9, v9, v14
	v_add_f16_e32 v14, v66, v69
	v_add_f16_e32 v28, v10, v13
	v_sub_f16_e32 v10, v10, v13
	v_add_f16_e32 v30, v11, v12
	v_sub_f16_e32 v11, v12, v11
	v_add_f16_e32 v12, v71, v76
	v_add_f16_e32 v32, v17, v22
	v_sub_f16_e32 v17, v17, v22
	v_add_f16_e32 v22, v72, v75
	;; [unrolled: 3-line block ×3, first 2 shown]
	v_sub_f16_e32 v31, v68, v67
	v_sub_f16_e32 v18, v18, v21
	v_add_f16_e32 v36, v19, v20
	v_sub_f16_e32 v19, v20, v19
	v_add_f16_e32 v20, v14, v25
	v_add_f16_e32 v39, v28, v26
	v_sub_f16_e32 v27, v65, v70
	v_sub_f16_e32 v33, v71, v76
	;; [unrolled: 1-line block ×3, first 2 shown]
	v_add_f16_e32 v21, v73, v74
	v_sub_f16_e32 v38, v74, v73
	v_sub_f16_e32 v44, v28, v26
	;; [unrolled: 1-line block ×4, first 2 shown]
	v_add_f16_e32 v46, v11, v10
	v_sub_f16_e32 v48, v11, v10
	v_sub_f16_e32 v10, v10, v9
	v_add_f16_e32 v49, v22, v12
	v_add_f16_e32 v50, v34, v32
	v_sub_f16_e32 v43, v14, v25
	v_sub_f16_e32 v25, v25, v13
	;; [unrolled: 1-line block ×3, first 2 shown]
	v_add_f16_e32 v45, v31, v29
	v_sub_f16_e32 v47, v31, v29
	v_add_f16_e32 v54, v19, v18
	v_sub_f16_e32 v56, v19, v18
	v_sub_f16_e32 v18, v18, v17
	v_add_f16_e32 v13, v13, v20
	v_add_f16_e32 v20, v30, v39
	v_sub_f16_e32 v29, v29, v27
	v_sub_f16_e32 v11, v9, v11
	;; [unrolled: 1-line block ×8, first 2 shown]
	v_add_f16_e32 v53, v38, v35
	v_sub_f16_e32 v55, v38, v35
	v_sub_f16_e32 v35, v35, v33
	v_add_f16_e32 v9, v46, v9
	v_mul_f16_e32 v26, 0x3a52, v26
	v_mul_f16_e32 v39, 0x2b26, v28
	;; [unrolled: 1-line block ×4, first 2 shown]
	v_add_f16_e32 v21, v21, v49
	v_add_f16_e32 v36, v36, v50
	v_sub_f16_e32 v31, v27, v31
	v_sub_f16_e32 v19, v17, v19
	v_add_f16_e32 v27, v45, v27
	v_mul_f16_e32 v25, 0x3a52, v25
	v_mul_f16_e32 v30, 0x2b26, v14
	;; [unrolled: 1-line block ×3, first 2 shown]
	v_add_f16_e32 v17, v54, v17
	v_mul_f16_e32 v54, 0x3846, v56
	v_mul_f16_e32 v56, 0xbb00, v18
	v_add_f16_e32 v23, v13, v23
	v_add_f16_e32 v41, v20, v41
	v_mul_f16_e32 v47, 0xbb00, v29
	v_sub_f16_e32 v38, v33, v38
	v_add_f16_e32 v33, v53, v33
	v_mul_f16_e32 v12, 0x3a52, v12
	v_mul_f16_e32 v32, 0x3a52, v32
	;; [unrolled: 1-line block ×6, first 2 shown]
	v_fmamk_f16 v28, v28, 0x2b26, v26
	v_fma_f16 v39, v44, 0x39e0, -v39
	v_fma_f16 v26, v44, 0xb9e0, -v26
	v_fmamk_f16 v44, v11, 0xb574, v46
	v_fma_f16 v10, v10, 0xbb00, -v46
	v_fma_f16 v11, v11, 0x3574, -v48
	v_add_f16_e32 v24, v21, v24
	v_add_f16_e32 v42, v36, v42
	v_fmamk_f16 v14, v14, 0x2b26, v25
	v_fma_f16 v30, v43, 0x39e0, -v30
	v_fma_f16 v25, v43, 0xb9e0, -v25
	v_fmamk_f16 v43, v31, 0xb574, v45
	v_fmamk_f16 v48, v19, 0xb574, v54
	v_fma_f16 v18, v18, 0xbb00, -v54
	v_fma_f16 v19, v19, 0x3574, -v56
	v_fmamk_f16 v13, v13, 0xbcab, v23
	;; [unrolled: 4-line block ×3, first 2 shown]
	v_fmamk_f16 v34, v34, 0x2b26, v32
	v_fma_f16 v45, v51, 0x39e0, -v49
	v_fma_f16 v46, v52, 0x39e0, -v50
	;; [unrolled: 1-line block ×4, first 2 shown]
	v_fmamk_f16 v47, v38, 0xb574, v53
	v_fma_f16 v35, v35, 0xbb00, -v53
	v_fma_f16 v38, v38, 0x3574, -v55
	v_fmac_f16_e32 v44, 0xb70e, v9
	v_fmac_f16_e32 v10, 0xb70e, v9
	;; [unrolled: 1-line block ×3, first 2 shown]
	v_fmamk_f16 v9, v21, 0xbcab, v24
	v_fmamk_f16 v21, v36, 0xbcab, v42
	v_fmac_f16_e32 v43, 0xb70e, v27
	v_fmac_f16_e32 v48, 0xb70e, v17
	;; [unrolled: 1-line block ×4, first 2 shown]
	v_pack_b32_f16 v17, v23, v41
	v_pack_b32_f16 v23, v24, v42
	v_add_f16_e32 v14, v14, v13
	v_add_f16_e32 v24, v28, v20
	v_fmac_f16_e32 v29, 0xb70e, v27
	v_fmac_f16_e32 v31, 0xb70e, v27
	v_add_f16_e32 v27, v30, v13
	v_add_f16_e32 v28, v39, v20
	;; [unrolled: 1-line block ×4, first 2 shown]
	v_fmac_f16_e32 v47, 0xb70e, v33
	v_fmac_f16_e32 v35, 0xb70e, v33
	;; [unrolled: 1-line block ×3, first 2 shown]
	v_add_f16_e32 v22, v22, v9
	v_add_f16_e32 v25, v34, v21
	;; [unrolled: 1-line block ×7, first 2 shown]
	v_sub_f16_e32 v32, v24, v43
	v_add_f16_e32 v33, v11, v13
	v_sub_f16_e32 v34, v20, v31
	v_sub_f16_e32 v36, v27, v10
	v_add_f16_e32 v39, v29, v28
	v_add_f16_e32 v10, v10, v27
	v_sub_f16_e32 v27, v28, v29
	v_sub_f16_e32 v11, v13, v11
	v_add_f16_e32 v13, v31, v20
	v_sub_f16_e32 v14, v14, v44
	v_add_f16_e32 v20, v43, v24
	v_add_f16_e32 v24, v48, v22
	v_sub_f16_e32 v28, v25, v47
	v_add_f16_e32 v29, v19, v9
	v_sub_f16_e32 v31, v12, v38
	v_sub_f16_e32 v41, v26, v18
	v_add_f16_e32 v18, v18, v26
	v_sub_f16_e32 v26, v30, v35
	;; [unrolled: 3-line block ×3, first 2 shown]
	v_add_f16_e32 v22, v47, v25
	v_add_f16_e32 v42, v35, v30
	v_pack_b32_f16 v21, v21, v32
	v_pack_b32_f16 v25, v33, v34
	;; [unrolled: 1-line block ×12, first 2 shown]
	ds_store_2addr_b32 v15, v17, v21 offset1:36
	ds_store_2addr_b32 v15, v25, v30 offset0:72 offset1:108
	ds_store_2addr_b32 v15, v10, v11 offset0:144 offset1:180
	ds_store_b32 v15, v13 offset:864
	ds_store_2addr_b32 v37, v23, v14 offset1:36
	ds_store_2addr_b32 v37, v20, v24 offset0:72 offset1:108
	ds_store_2addr_b32 v37, v18, v9 offset0:144 offset1:180
	ds_store_b32 v37, v12 offset:864
	global_wb scope:SCOPE_SE
	s_wait_dscnt 0x0
	s_barrier_signal -1
	s_barrier_wait -1
	global_inv scope:SCOPE_SE
	s_clause 0x3
	global_load_b128 v[9:12], v40, s[4:5] offset:1000
	global_load_b64 v[13:14], v40, s[4:5] offset:1016
	global_load_b128 v[17:20], v40, s[4:5] offset:4024
	global_load_b64 v[21:22], v40, s[4:5] offset:4040
	ds_load_2addr_b32 v[23:24], v1 offset0:104 offset1:230
	ds_load_2addr_b32 v[25:26], v4 offset0:124 offset1:250
	;; [unrolled: 1-line block ×6, first 2 shown]
	ds_load_2addr_b32 v[35:36], v16 offset1:126
	global_wb scope:SCOPE_SE
	s_wait_loadcnt_dscnt 0x0
	s_barrier_signal -1
	s_barrier_wait -1
	global_inv scope:SCOPE_SE
	v_lshrrev_b32_e32 v15, 16, v23
	v_lshrrev_b32_e32 v37, 16, v26
	v_lshrrev_b32_e32 v38, 16, v28
	v_lshrrev_b32_e32 v39, 16, v30
	v_lshrrev_b32_e32 v40, 16, v32
	v_lshrrev_b32_e32 v41, 16, v34
	v_lshrrev_b32_e32 v42, 16, v24
	v_lshrrev_b32_e32 v43, 16, v25
	v_lshrrev_b32_e32 v44, 16, v27
	v_lshrrev_b32_e32 v45, 16, v29
	v_lshrrev_b32_e32 v46, 16, v31
	v_lshrrev_b32_e32 v47, 16, v33
	v_lshrrev_b32_e32 v48, 16, v35
	v_lshrrev_b32_e32 v49, 16, v36
	v_lshrrev_b32_e32 v50, 16, v9
	v_lshrrev_b32_e32 v51, 16, v10
	v_lshrrev_b32_e32 v52, 16, v11
	v_lshrrev_b32_e32 v53, 16, v12
	v_lshrrev_b32_e32 v54, 16, v13
	v_lshrrev_b32_e32 v55, 16, v14
	v_lshrrev_b32_e32 v56, 16, v17
	v_lshrrev_b32_e32 v57, 16, v18
	v_lshrrev_b32_e32 v58, 16, v19
	v_lshrrev_b32_e32 v59, 16, v20
	v_lshrrev_b32_e32 v60, 16, v21
	v_lshrrev_b32_e32 v61, 16, v22
	v_mul_f16_e32 v62, v50, v43
	v_mul_f16_e32 v50, v50, v25
	;; [unrolled: 1-line block ×24, first 2 shown]
	v_fmac_f16_e32 v62, v9, v25
	v_fma_f16 v9, v9, v43, -v50
	v_fmac_f16_e32 v63, v10, v27
	v_fma_f16 v10, v10, v44, -v51
	;; [unrolled: 2-line block ×12, first 2 shown]
	v_add_f16_e32 v22, v62, v67
	v_add_f16_e32 v23, v9, v14
	v_sub_f16_e32 v9, v9, v14
	v_add_f16_e32 v14, v63, v66
	v_add_f16_e32 v25, v10, v13
	v_sub_f16_e32 v26, v63, v66
	v_sub_f16_e32 v10, v10, v13
	v_add_f16_e32 v13, v64, v65
	v_add_f16_e32 v27, v11, v12
	v_sub_f16_e32 v28, v65, v64
	v_sub_f16_e32 v11, v12, v11
	v_add_f16_e32 v12, v68, v73
	v_add_f16_e32 v29, v15, v21
	v_sub_f16_e32 v15, v15, v21
	v_add_f16_e32 v21, v69, v72
	v_add_f16_e32 v31, v17, v20
	v_sub_f16_e32 v24, v62, v67
	v_sub_f16_e32 v30, v68, v73
	;; [unrolled: 1-line block ×4, first 2 shown]
	v_add_f16_e32 v20, v70, v71
	v_add_f16_e32 v33, v18, v19
	v_sub_f16_e32 v34, v71, v70
	v_sub_f16_e32 v18, v19, v18
	v_add_f16_e32 v19, v14, v22
	v_add_f16_e32 v37, v25, v23
	v_sub_f16_e32 v38, v14, v22
	v_sub_f16_e32 v39, v25, v23
	;; [unrolled: 1-line block ×6, first 2 shown]
	v_add_f16_e32 v40, v28, v26
	v_add_f16_e32 v41, v11, v10
	v_sub_f16_e32 v42, v28, v26
	v_sub_f16_e32 v43, v11, v10
	;; [unrolled: 1-line block ×3, first 2 shown]
	v_add_f16_e32 v44, v21, v12
	v_add_f16_e32 v45, v31, v29
	v_sub_f16_e32 v28, v24, v28
	v_sub_f16_e32 v11, v9, v11
	v_sub_f16_e32 v26, v26, v24
	v_sub_f16_e32 v46, v21, v12
	v_sub_f16_e32 v47, v31, v29
	v_sub_f16_e32 v12, v12, v20
	v_sub_f16_e32 v29, v29, v33
	v_sub_f16_e32 v21, v20, v21
	v_sub_f16_e32 v31, v33, v31
	v_add_f16_e32 v50, v34, v32
	v_add_f16_e32 v51, v18, v17
	v_sub_f16_e32 v52, v34, v32
	v_sub_f16_e32 v53, v18, v17
	;; [unrolled: 1-line block ×4, first 2 shown]
	v_add_f16_e32 v13, v13, v19
	v_add_f16_e32 v19, v27, v37
	;; [unrolled: 1-line block ×4, first 2 shown]
	v_mul_f16_e32 v22, 0x3a52, v22
	v_mul_f16_e32 v23, 0x3a52, v23
	;; [unrolled: 1-line block ×7, first 2 shown]
	v_add_f16_e32 v20, v20, v44
	v_add_f16_e32 v33, v33, v45
	v_sub_f16_e32 v34, v30, v34
	v_sub_f16_e32 v18, v15, v18
	v_mul_f16_e32 v42, 0xbb00, v26
	v_add_f16_e32 v30, v50, v30
	v_add_f16_e32 v15, v51, v15
	v_mul_f16_e32 v12, 0x3a52, v12
	v_mul_f16_e32 v29, 0x3a52, v29
	;; [unrolled: 1-line block ×7, first 2 shown]
	v_add_f16_e32 v35, v13, v35
	v_add_f16_e32 v48, v19, v48
	v_fmamk_f16 v14, v14, 0x2b26, v22
	v_fmamk_f16 v25, v25, 0x2b26, v23
	v_fma_f16 v27, v38, 0x39e0, -v27
	v_fma_f16 v37, v39, 0x39e0, -v37
	;; [unrolled: 1-line block ×4, first 2 shown]
	v_fmamk_f16 v38, v28, 0xb574, v40
	v_fmamk_f16 v39, v11, 0xb574, v41
	v_fma_f16 v26, v26, 0xbb00, -v40
	v_fma_f16 v10, v10, 0xbb00, -v41
	;; [unrolled: 1-line block ×3, first 2 shown]
	v_add_f16_e32 v36, v20, v36
	v_add_f16_e32 v40, v33, v49
	v_mul_f16_e32 v45, 0x2b26, v31
	v_fma_f16 v28, v28, 0x3574, -v42
	v_fmamk_f16 v21, v21, 0x2b26, v12
	v_fmamk_f16 v31, v31, 0x2b26, v29
	v_fma_f16 v41, v46, 0x39e0, -v44
	v_fmamk_f16 v43, v34, 0xb574, v50
	v_fmamk_f16 v44, v18, 0xb574, v51
	v_fma_f16 v32, v32, 0xbb00, -v50
	v_fma_f16 v17, v17, 0xbb00, -v51
	v_fma_f16 v34, v34, 0x3574, -v52
	v_fma_f16 v18, v18, 0x3574, -v53
	v_fmamk_f16 v13, v13, 0xbcab, v35
	v_fmamk_f16 v19, v19, 0xbcab, v48
	v_fmac_f16_e32 v39, 0xb70e, v9
	v_fmac_f16_e32 v10, 0xb70e, v9
	;; [unrolled: 1-line block ×3, first 2 shown]
	v_fmamk_f16 v9, v20, 0xbcab, v36
	v_fmamk_f16 v20, v33, 0xbcab, v40
	v_fma_f16 v12, v46, 0xb9e0, -v12
	v_fma_f16 v29, v47, 0xb9e0, -v29
	;; [unrolled: 1-line block ×3, first 2 shown]
	v_fmac_f16_e32 v38, 0xb70e, v24
	v_fmac_f16_e32 v26, 0xb70e, v24
	v_fmac_f16_e32 v28, 0xb70e, v24
	v_fmac_f16_e32 v43, 0xb70e, v30
	v_fmac_f16_e32 v44, 0xb70e, v15
	v_fmac_f16_e32 v32, 0xb70e, v30
	v_fmac_f16_e32 v17, 0xb70e, v15
	v_fmac_f16_e32 v34, 0xb70e, v30
	v_fmac_f16_e32 v18, 0xb70e, v15
	v_pack_b32_f16 v15, v35, v48
	v_pack_b32_f16 v24, v36, v40
	v_add_f16_e32 v14, v14, v13
	v_add_f16_e32 v25, v25, v19
	;; [unrolled: 1-line block ×12, first 2 shown]
	ds_store_2addr_b32 v16, v15, v24 offset1:126
	v_add_f16_e32 v15, v39, v14
	v_sub_f16_e32 v16, v25, v38
	v_add_f16_e32 v20, v11, v13
	v_sub_f16_e32 v24, v19, v28
	v_sub_f16_e32 v29, v27, v10
	v_add_f16_e32 v10, v10, v27
	v_sub_f16_e32 v11, v13, v11
	v_add_f16_e32 v13, v28, v19
	;; [unrolled: 2-line block ×3, first 2 shown]
	v_add_f16_e32 v25, v44, v21
	v_sub_f16_e32 v27, v22, v43
	v_add_f16_e32 v33, v26, v30
	v_sub_f16_e32 v26, v30, v26
	;; [unrolled: 2-line block ×3, first 2 shown]
	v_sub_f16_e32 v35, v23, v17
	v_add_f16_e32 v36, v32, v31
	v_add_f16_e32 v17, v17, v23
	v_sub_f16_e32 v23, v31, v32
	v_sub_f16_e32 v9, v9, v18
	v_add_f16_e32 v12, v34, v12
	v_sub_f16_e32 v18, v21, v44
	v_add_f16_e32 v21, v43, v22
	v_pack_b32_f16 v15, v15, v16
	v_pack_b32_f16 v11, v11, v13
	;; [unrolled: 1-line block ×12, first 2 shown]
	ds_store_2addr_b32 v4, v15, v14 offset0:124 offset1:250
	ds_store_2addr_b32 v5, v16, v19 offset0:120 offset1:246
	;; [unrolled: 1-line block ×6, first 2 shown]
	global_wb scope:SCOPE_SE
	s_wait_dscnt 0x0
	s_barrier_signal -1
	s_barrier_wait -1
	global_inv scope:SCOPE_SE
	s_and_saveexec_b32 s0, vcc_lo
	s_cbranch_execz .LBB0_27
; %bb.26:
	v_dual_mov_b32 v1, 0 :: v_dual_add_nc_u32 v6, 0x7e, v0
	v_add_co_u32 v29, vcc_lo, s8, v2
	s_wait_alu 0xfffd
	v_add_co_ci_u32_e32 v30, vcc_lo, s9, v3, vcc_lo
	s_delay_alu instid0(VALU_DEP_3) | instskip(SKIP_3) | instid1(VALU_DEP_4)
	v_dual_mov_b32 v7, v1 :: v_dual_add_nc_u32 v8, 0xfc, v0
	v_lshlrev_b64_e32 v[2:3], 2, v[0:1]
	v_lshl_add_u32 v28, v0, 2, 0
	v_mov_b32_e32 v9, v1
	v_lshlrev_b64_e32 v[6:7], 2, v[6:7]
	v_dual_mov_b32 v11, v1 :: v_dual_add_nc_u32 v10, 0x17a, v0
	v_add_co_u32 v2, vcc_lo, v29, v2
	v_add_nc_u32_e32 v12, 0x200, v28
	v_lshlrev_b64_e32 v[8:9], 2, v[8:9]
	v_dual_mov_b32 v15, v1 :: v_dual_add_nc_u32 v14, 0x1f8, v0
	s_wait_alu 0xfffd
	v_add_co_ci_u32_e32 v3, vcc_lo, v30, v3, vcc_lo
	v_dual_mov_b32 v19, v1 :: v_dual_add_nc_u32 v16, 0x600, v28
	ds_load_2addr_b32 v[4:5], v28 offset1:126
	v_add_co_u32 v6, vcc_lo, v29, v6
	v_lshlrev_b64_e32 v[10:11], 2, v[10:11]
	v_dual_mov_b32 v21, v1 :: v_dual_add_nc_u32 v18, 0x276, v0
	v_dual_mov_b32 v27, v1 :: v_dual_add_nc_u32 v24, 0xa00, v28
	s_wait_alu 0xfffd
	v_add_co_ci_u32_e32 v7, vcc_lo, v30, v7, vcc_lo
	ds_load_2addr_b32 v[12:13], v12 offset0:124 offset1:250
	v_add_co_u32 v8, vcc_lo, v29, v8
	v_lshlrev_b64_e32 v[14:15], 2, v[14:15]
	ds_load_2addr_b32 v[16:17], v16 offset0:120 offset1:246
	v_dual_mov_b32 v23, v1 :: v_dual_add_nc_u32 v20, 0x2f4, v0
	s_wait_alu 0xfffd
	v_add_co_ci_u32_e32 v9, vcc_lo, v30, v9, vcc_lo
	v_add_co_u32 v10, vcc_lo, v29, v10
	v_lshlrev_b64_e32 v[18:19], 2, v[18:19]
	ds_load_2addr_b32 v[24:25], v24 offset0:116 offset1:242
	v_add_nc_u32_e32 v22, 0x372, v0
	s_wait_alu 0xfffd
	v_add_co_ci_u32_e32 v11, vcc_lo, v30, v11, vcc_lo
	v_add_co_u32 v14, vcc_lo, v29, v14
	v_lshlrev_b64_e32 v[20:21], 2, v[20:21]
	s_wait_alu 0xfffd
	v_add_co_ci_u32_e32 v15, vcc_lo, v30, v15, vcc_lo
	v_add_co_u32 v18, vcc_lo, v29, v18
	v_lshlrev_b64_e32 v[22:23], 2, v[22:23]
	s_wait_alu 0xfffd
	v_add_co_ci_u32_e32 v19, vcc_lo, v30, v19, vcc_lo
	v_add_co_u32 v20, vcc_lo, v29, v20
	s_wait_alu 0xfffd
	v_add_co_ci_u32_e32 v21, vcc_lo, v30, v21, vcc_lo
	v_add_nc_u32_e32 v26, 0x3f0, v0
	v_add_co_u32 v22, vcc_lo, v29, v22
	s_wait_alu 0xfffd
	v_add_co_ci_u32_e32 v23, vcc_lo, v30, v23, vcc_lo
	v_add_nc_u32_e32 v31, 0xe00, v28
	s_wait_dscnt 0x3
	s_clause 0x1
	global_store_b32 v[2:3], v4, off
	global_store_b32 v[6:7], v5, off
	s_wait_dscnt 0x2
	s_clause 0x1
	global_store_b32 v[8:9], v12, off
	global_store_b32 v[10:11], v13, off
	;; [unrolled: 4-line block ×4, first 2 shown]
	v_dual_mov_b32 v9, v1 :: v_dual_add_nc_u32 v4, 0x46e, v0
	v_mov_b32_e32 v11, v1
	v_mov_b32_e32 v5, v1
	v_lshlrev_b64_e32 v[26:27], 2, v[26:27]
	v_add_nc_u32_e32 v12, 0x1200, v28
	v_dual_mov_b32 v15, v1 :: v_dual_add_nc_u32 v8, 0x4ec, v0
	v_add_nc_u32_e32 v16, 0x1600, v28
	ds_load_2addr_b32 v[2:3], v31 offset0:112 offset1:238
	v_lshlrev_b64_e32 v[4:5], 2, v[4:5]
	v_add_nc_u32_e32 v10, 0x56a, v0
	ds_load_2addr_b32 v[12:13], v12 offset0:108 offset1:234
	v_add_co_u32 v6, vcc_lo, v29, v26
	v_lshlrev_b64_e32 v[8:9], 2, v[8:9]
	v_add_nc_u32_e32 v14, 0x5e8, v0
	ds_load_2addr_b32 v[16:17], v16 offset0:104 offset1:230
	s_wait_alu 0xfffd
	v_add_co_ci_u32_e32 v7, vcc_lo, v30, v27, vcc_lo
	v_add_co_u32 v4, vcc_lo, v29, v4
	v_lshlrev_b64_e32 v[10:11], 2, v[10:11]
	v_add_nc_u32_e32 v0, 0x666, v0
	s_wait_alu 0xfffd
	v_add_co_ci_u32_e32 v5, vcc_lo, v30, v5, vcc_lo
	v_add_co_u32 v8, vcc_lo, v29, v8
	v_lshlrev_b64_e32 v[14:15], 2, v[14:15]
	s_wait_alu 0xfffd
	v_add_co_ci_u32_e32 v9, vcc_lo, v30, v9, vcc_lo
	v_add_co_u32 v10, vcc_lo, v29, v10
	v_lshlrev_b64_e32 v[0:1], 2, v[0:1]
	s_wait_alu 0xfffd
	v_add_co_ci_u32_e32 v11, vcc_lo, v30, v11, vcc_lo
	v_add_co_u32 v14, vcc_lo, v29, v14
	s_wait_alu 0xfffd
	v_add_co_ci_u32_e32 v15, vcc_lo, v30, v15, vcc_lo
	v_add_co_u32 v0, vcc_lo, v29, v0
	s_wait_alu 0xfffd
	v_add_co_ci_u32_e32 v1, vcc_lo, v30, v1, vcc_lo
	s_wait_dscnt 0x2
	s_clause 0x1
	global_store_b32 v[6:7], v2, off
	global_store_b32 v[4:5], v3, off
	s_wait_dscnt 0x1
	s_clause 0x1
	global_store_b32 v[8:9], v12, off
	global_store_b32 v[10:11], v13, off
	;; [unrolled: 4-line block ×3, first 2 shown]
.LBB0_27:
	s_nop 0
	s_sendmsg sendmsg(MSG_DEALLOC_VGPRS)
	s_endpgm
	.section	.rodata,"a",@progbits
	.p2align	6, 0x0
	.amdhsa_kernel fft_rtc_back_len1764_factors_2_2_3_3_7_7_wgs_126_tpt_126_halfLds_half_ip_CI_unitstride_sbrr_C2R_dirReg
		.amdhsa_group_segment_fixed_size 0
		.amdhsa_private_segment_fixed_size 0
		.amdhsa_kernarg_size 88
		.amdhsa_user_sgpr_count 2
		.amdhsa_user_sgpr_dispatch_ptr 0
		.amdhsa_user_sgpr_queue_ptr 0
		.amdhsa_user_sgpr_kernarg_segment_ptr 1
		.amdhsa_user_sgpr_dispatch_id 0
		.amdhsa_user_sgpr_private_segment_size 0
		.amdhsa_wavefront_size32 1
		.amdhsa_uses_dynamic_stack 0
		.amdhsa_enable_private_segment 0
		.amdhsa_system_sgpr_workgroup_id_x 1
		.amdhsa_system_sgpr_workgroup_id_y 0
		.amdhsa_system_sgpr_workgroup_id_z 0
		.amdhsa_system_sgpr_workgroup_info 0
		.amdhsa_system_vgpr_workitem_id 0
		.amdhsa_next_free_vgpr 77
		.amdhsa_next_free_sgpr 32
		.amdhsa_reserve_vcc 1
		.amdhsa_float_round_mode_32 0
		.amdhsa_float_round_mode_16_64 0
		.amdhsa_float_denorm_mode_32 3
		.amdhsa_float_denorm_mode_16_64 3
		.amdhsa_fp16_overflow 0
		.amdhsa_workgroup_processor_mode 1
		.amdhsa_memory_ordered 1
		.amdhsa_forward_progress 0
		.amdhsa_round_robin_scheduling 0
		.amdhsa_exception_fp_ieee_invalid_op 0
		.amdhsa_exception_fp_denorm_src 0
		.amdhsa_exception_fp_ieee_div_zero 0
		.amdhsa_exception_fp_ieee_overflow 0
		.amdhsa_exception_fp_ieee_underflow 0
		.amdhsa_exception_fp_ieee_inexact 0
		.amdhsa_exception_int_div_zero 0
	.end_amdhsa_kernel
	.text
.Lfunc_end0:
	.size	fft_rtc_back_len1764_factors_2_2_3_3_7_7_wgs_126_tpt_126_halfLds_half_ip_CI_unitstride_sbrr_C2R_dirReg, .Lfunc_end0-fft_rtc_back_len1764_factors_2_2_3_3_7_7_wgs_126_tpt_126_halfLds_half_ip_CI_unitstride_sbrr_C2R_dirReg
                                        ; -- End function
	.section	.AMDGPU.csdata,"",@progbits
; Kernel info:
; codeLenInByte = 11612
; NumSgprs: 34
; NumVgprs: 77
; ScratchSize: 0
; MemoryBound: 0
; FloatMode: 240
; IeeeMode: 1
; LDSByteSize: 0 bytes/workgroup (compile time only)
; SGPRBlocks: 4
; VGPRBlocks: 9
; NumSGPRsForWavesPerEU: 34
; NumVGPRsForWavesPerEU: 77
; Occupancy: 16
; WaveLimiterHint : 1
; COMPUTE_PGM_RSRC2:SCRATCH_EN: 0
; COMPUTE_PGM_RSRC2:USER_SGPR: 2
; COMPUTE_PGM_RSRC2:TRAP_HANDLER: 0
; COMPUTE_PGM_RSRC2:TGID_X_EN: 1
; COMPUTE_PGM_RSRC2:TGID_Y_EN: 0
; COMPUTE_PGM_RSRC2:TGID_Z_EN: 0
; COMPUTE_PGM_RSRC2:TIDIG_COMP_CNT: 0
	.text
	.p2alignl 7, 3214868480
	.fill 96, 4, 3214868480
	.type	__hip_cuid_9fa7811012f522c9,@object ; @__hip_cuid_9fa7811012f522c9
	.section	.bss,"aw",@nobits
	.globl	__hip_cuid_9fa7811012f522c9
__hip_cuid_9fa7811012f522c9:
	.byte	0                               ; 0x0
	.size	__hip_cuid_9fa7811012f522c9, 1

	.ident	"AMD clang version 19.0.0git (https://github.com/RadeonOpenCompute/llvm-project roc-6.4.0 25133 c7fe45cf4b819c5991fe208aaa96edf142730f1d)"
	.section	".note.GNU-stack","",@progbits
	.addrsig
	.addrsig_sym __hip_cuid_9fa7811012f522c9
	.amdgpu_metadata
---
amdhsa.kernels:
  - .args:
      - .actual_access:  read_only
        .address_space:  global
        .offset:         0
        .size:           8
        .value_kind:     global_buffer
      - .offset:         8
        .size:           8
        .value_kind:     by_value
      - .actual_access:  read_only
        .address_space:  global
        .offset:         16
        .size:           8
        .value_kind:     global_buffer
      - .actual_access:  read_only
        .address_space:  global
        .offset:         24
        .size:           8
        .value_kind:     global_buffer
      - .offset:         32
        .size:           8
        .value_kind:     by_value
      - .actual_access:  read_only
        .address_space:  global
        .offset:         40
        .size:           8
        .value_kind:     global_buffer
      - .actual_access:  read_only
        .address_space:  global
        .offset:         48
        .size:           8
        .value_kind:     global_buffer
      - .offset:         56
        .size:           4
        .value_kind:     by_value
      - .actual_access:  read_only
        .address_space:  global
        .offset:         64
        .size:           8
        .value_kind:     global_buffer
      - .actual_access:  read_only
        .address_space:  global
        .offset:         72
        .size:           8
        .value_kind:     global_buffer
      - .address_space:  global
        .offset:         80
        .size:           8
        .value_kind:     global_buffer
    .group_segment_fixed_size: 0
    .kernarg_segment_align: 8
    .kernarg_segment_size: 88
    .language:       OpenCL C
    .language_version:
      - 2
      - 0
    .max_flat_workgroup_size: 126
    .name:           fft_rtc_back_len1764_factors_2_2_3_3_7_7_wgs_126_tpt_126_halfLds_half_ip_CI_unitstride_sbrr_C2R_dirReg
    .private_segment_fixed_size: 0
    .sgpr_count:     34
    .sgpr_spill_count: 0
    .symbol:         fft_rtc_back_len1764_factors_2_2_3_3_7_7_wgs_126_tpt_126_halfLds_half_ip_CI_unitstride_sbrr_C2R_dirReg.kd
    .uniform_work_group_size: 1
    .uses_dynamic_stack: false
    .vgpr_count:     77
    .vgpr_spill_count: 0
    .wavefront_size: 32
    .workgroup_processor_mode: 1
amdhsa.target:   amdgcn-amd-amdhsa--gfx1201
amdhsa.version:
  - 1
  - 2
...

	.end_amdgpu_metadata
